;; amdgpu-corpus repo=zjin-lcf/HeCBench kind=compiled arch=gfx1250 opt=O3
	.amdgcn_target "amdgcn-amd-amdhsa--gfx1250"
	.amdhsa_code_object_version 6
	.text
	.protected	_Z18BP_queens_root_dfsijiPK10queen_rootPyS2_ ; -- Begin function _Z18BP_queens_root_dfsijiPK10queen_rootPyS2_
	.globl	_Z18BP_queens_root_dfsijiPK10queen_rootPyS2_
	.p2align	8
	.type	_Z18BP_queens_root_dfsijiPK10queen_rootPyS2_,@function
_Z18BP_queens_root_dfsijiPK10queen_rootPyS2_: ; @_Z18BP_queens_root_dfsijiPK10queen_rootPyS2_
; %bb.0:
	s_clause 0x1
	s_load_b32 s2, s[0:1], 0x34
	s_load_b96 s[24:26], s[0:1], 0x0
	s_bfe_u32 s3, ttmp6, 0x4000c
	s_and_b32 s4, ttmp6, 15
	s_add_co_i32 s3, s3, 1
	s_getreg_b32 s5, hwreg(HW_REG_IB_STS2, 6, 4)
	s_mul_i32 s3, ttmp9, s3
	s_delay_alu instid0(SALU_CYCLE_1) | instskip(SKIP_4) | instid1(SALU_CYCLE_1)
	s_add_co_i32 s4, s4, s3
	s_wait_kmcnt 0x0
	s_and_b32 s2, s2, 0xffff
	s_cmp_eq_u32 s5, 0
	s_cselect_b32 s3, ttmp9, s4
	v_mad_u32 v0, s3, s2, v0
	s_mov_b32 s2, 0
	s_mov_b32 s3, exec_lo
	s_delay_alu instid0(VALU_DEP_1)
	v_cmpx_gt_u32_e64 s25, v0
	s_cbranch_execz .LBB0_39
; %bb.1:
	v_mov_b32_e32 v2, 0
	s_cmp_lt_i32 s24, 1
	s_cbranch_scc1 .LBB0_5
; %bb.2:
	s_cmp_eq_u32 s24, 1
	s_cbranch_scc1 .LBB0_6
; %bb.3:
	s_mov_b32 s6, 0
	s_and_b32 s13, s24, 0x7ffffffe
	s_mov_b64 s[2:3], 0
	s_mov_b32 s7, s6
	s_mov_b32 s4, s6
	;; [unrolled: 1-line block ×4, first 2 shown]
.LBB0_4:                                ; =>This Inner Loop Header: Depth=1
	s_lshr_b32 s17, s7, 8
	s_lshr_b32 s16, s7, 16
	;; [unrolled: 1-line block ×10, first 2 shown]
	s_lshr_b64 s[8:9], s[4:5], 24
	s_lshr_b32 s14, s7, 24
	s_lshr_b32 s15, s6, 8
	;; [unrolled: 1-line block ×3, first 2 shown]
	s_lshr_b64 s[10:11], s[6:7], 24
	s_cmp_lg_u32 s2, 16
	s_cselect_b32 s30, -1, 0
	s_cmp_lg_u32 s2, 17
	s_cselect_b32 s33, -1, 0
	;; [unrolled: 2-line block ×20, first 2 shown]
	s_add_co_i32 s37, s2, 1
	s_add_nc_u64 s[2:3], s[2:3], 2
	s_cmp_lg_u32 s37, 3
	s_cselect_b32 s49, -1, 0
	s_delay_alu instid0(SALU_CYCLE_1) | instskip(NEXT) | instid1(SALU_CYCLE_1)
	s_and_b32 s9, s49, s9
	s_and_b32 s9, s9, exec_lo
	s_cselect_b32 s9, s10, 0xffff
	s_cmp_lg_u32 s37, 2
	s_cselect_b32 s10, -1, 0
	s_delay_alu instid0(SALU_CYCLE_1) | instskip(NEXT) | instid1(SALU_CYCLE_1)
	s_and_b32 s10, s10, s48
	s_and_b32 s10, s10, exec_lo
	s_cselect_b32 s10, s18, 0xffff
	;; [unrolled: 6-line block ×20, first 2 shown]
	s_lshl_b32 s4, s11, 8
	s_and_b32 s5, s15, 0xff
	s_lshl_b32 s6, s9, 8
	s_and_b32 s7, s10, 0xff
	;; [unrolled: 2-line block ×8, first 2 shown]
	s_lshl_b32 s44, s27, 8
	s_lshl_b32 s45, s31, 8
	s_and_b32 s46, s29, 0xff
	s_or_b32 s4, s5, s4
	s_or_b32 s5, s7, s6
	s_or_b32 s6, s33, s12
	s_or_b32 s12, s37, s36
	s_or_b32 s33, s39, s38
	s_and_b32 s36, s30, 0xff
	s_or_b32 s7, s35, s34
	s_or_b32 s34, s41, s40
	;; [unrolled: 1-line block ×4, first 2 shown]
	s_and_b32 s4, s4, 0xffff
	s_lshl_b32 s5, s5, 16
	s_and_b32 s12, s12, 0xffff
	s_lshl_b32 s33, s33, 16
	s_or_b32 s36, s36, s44
	s_and_b32 s38, s6, 0xffff
	s_lshl_b32 s7, s7, 16
	s_and_b32 s34, s34, 0xffff
	s_lshl_b32 s35, s35, 16
	s_lshl_b32 s37, s37, 16
	s_or_b32 s6, s4, s5
	s_or_b32 s4, s12, s33
	s_and_b32 s12, s36, 0xffff
	s_or_b32 s7, s38, s7
	s_or_b32 s5, s34, s35
	;; [unrolled: 1-line block ×3, first 2 shown]
	s_cmp_lg_u32 s13, s2
	s_cbranch_scc1 .LBB0_4
	s_branch .LBB0_7
.LBB0_5:
	v_dual_mov_b32 v7, 0 :: v_dual_mov_b32 v9, 0
	v_dual_mov_b32 v6, 0 :: v_dual_mov_b32 v3, 0
	;; [unrolled: 1-line block ×7, first 2 shown]
	v_mov_b32_e32 v26, 0
	s_mov_b32 s3, 0
	s_mov_b32 s5, 0
	;; [unrolled: 1-line block ×3, first 2 shown]
	s_branch .LBB0_8
.LBB0_6:
	s_mov_b32 s12, 0
	s_mov_b64 s[2:3], 0
	s_mov_b32 s5, 0
	s_mov_b32 s4, s12
	;; [unrolled: 1-line block ×4, first 2 shown]
                                        ; implicit-def: $sgpr30
                                        ; implicit-def: $sgpr27
                                        ; implicit-def: $sgpr29
                                        ; implicit-def: $sgpr31
                                        ; implicit-def: $sgpr28
                                        ; implicit-def: $sgpr25
                                        ; implicit-def: $sgpr23
                                        ; implicit-def: $sgpr21
                                        ; implicit-def: $sgpr22
                                        ; implicit-def: $sgpr20
                                        ; implicit-def: $sgpr19
                                        ; implicit-def: $sgpr8
                                        ; implicit-def: $sgpr18
                                        ; implicit-def: $sgpr17
                                        ; implicit-def: $sgpr16
                                        ; implicit-def: $sgpr14
                                        ; implicit-def: $sgpr15
                                        ; implicit-def: $sgpr11
                                        ; implicit-def: $sgpr10
                                        ; implicit-def: $sgpr9
.LBB0_7:
	v_mov_b32_e32 v1, 0xc0c0004
	s_lshr_b32 s3, s7, 8
	s_lshr_b32 s13, s7, 16
	;; [unrolled: 1-line block ×3, first 2 shown]
	s_and_b32 s35, s24, 1
	v_perm_b32 v2, s29, s31, v1
	v_perm_b32 v3, s30, s27, v1
	s_lshr_b32 s27, s7, 24
	s_lshr_b32 s29, s5, 8
	;; [unrolled: 1-line block ×3, first 2 shown]
	v_readfirstlane_b32 s30, v2
	v_readfirstlane_b32 s33, v3
	s_lshr_b32 s36, s6, 24
	v_perm_b32 v3, s10, s9, v1
	v_perm_b32 v7, s19, s8, v1
	s_lshl_b32 s30, s30, 16
	v_perm_b32 v2, s15, s11, v1
	s_or_b32 s30, s33, s30
	s_cmp_lg_u32 s2, 3
	v_perm_b32 v4, s18, s17, v1
	s_cselect_b32 s33, s36, 0xffff
	s_lshr_b32 s36, s6, 16
	s_lshl_b32 s33, s33, 24
	s_cmp_lg_u32 s2, 2
	v_perm_b32 v5, s16, s14, v1
	s_cselect_b32 s36, s36, 0xffff
	s_lshr_b32 s37, s6, 8
	s_and_b32 s36, s36, 0xff
	v_perm_b32 v6, s22, s20, v1
	s_lshl_b32 s36, s36, 16
	v_perm_b32 v8, s28, s25, v1
	s_or_b32 s33, s33, s36
	s_cmp_lg_u32 s2, 1
	v_perm_b32 v1, s23, s21, v1
	s_cselect_b32 s36, s37, 0xffff
	v_lshlrev_b32_e32 v7, 16, v7
	s_lshl_b32 s36, s36, 8
	s_cmp_lg_u32 s2, 0
	v_lshlrev_b32_e32 v1, 16, v1
	s_cselect_b32 s6, s6, 0xffff
	v_dual_lshlrev_b32 v3, 16, v3 :: v_dual_lshlrev_b32 v5, 16, v5
	s_and_b32 s6, s6, 0xff
	s_delay_alu instid0(SALU_CYCLE_1) | instskip(NEXT) | instid1(SALU_CYCLE_1)
	s_or_b32 s6, s6, s36
	s_and_b32 s6, s6, 0xffff
	s_delay_alu instid0(SALU_CYCLE_1) | instskip(SKIP_2) | instid1(SALU_CYCLE_1)
	s_or_b32 s6, s6, s33
	s_cmp_lg_u32 s2, 7
	s_cselect_b32 s27, s27, 0xffff
	s_lshl_b32 s27, s27, 24
	s_cmp_lg_u32 s2, 6
	s_cselect_b32 s13, s13, 0xffff
	s_delay_alu instid0(SALU_CYCLE_1) | instskip(NEXT) | instid1(SALU_CYCLE_1)
	s_and_b32 s13, s13, 0xff
	s_lshl_b32 s13, s13, 16
	s_delay_alu instid0(SALU_CYCLE_1) | instskip(SKIP_2) | instid1(SALU_CYCLE_1)
	s_or_b32 s13, s27, s13
	s_cmp_lg_u32 s2, 5
	s_cselect_b32 s3, s3, 0xffff
	s_lshl_b32 s3, s3, 8
	s_cmp_lg_u32 s2, 4
	s_cselect_b32 s7, s7, 0xffff
	s_delay_alu instid0(SALU_CYCLE_1) | instskip(NEXT) | instid1(SALU_CYCLE_1)
	s_and_b32 s7, s7, 0xff
	s_or_b32 s3, s7, s3
	s_lshr_b32 s7, s12, 24
	s_and_b32 s3, s3, 0xffff
	s_delay_alu instid0(SALU_CYCLE_1)
	s_or_b32 s13, s3, s13
	s_cmp_lg_u32 s2, 19
	s_cselect_b32 s3, s7, 0xffff
	s_lshr_b32 s7, s12, 16
	s_lshl_b32 s3, s3, 24
	s_cmp_lg_u32 s2, 18
	s_cselect_b32 s7, s7, 0xffff
	s_lshr_b32 s27, s12, 8
	s_and_b32 s7, s7, 0xff
	s_delay_alu instid0(SALU_CYCLE_1) | instskip(NEXT) | instid1(SALU_CYCLE_1)
	s_lshl_b32 s7, s7, 16
	s_or_b32 s3, s3, s7
	s_cmp_lg_u32 s2, 17
	s_cselect_b32 s7, s27, 0xffff
	s_delay_alu instid0(SALU_CYCLE_1) | instskip(SKIP_2) | instid1(SALU_CYCLE_1)
	s_lshl_b32 s7, s7, 8
	s_cmp_lg_u32 s2, 16
	s_cselect_b32 s12, s12, 0xffff
	s_and_b32 s12, s12, 0xff
	s_delay_alu instid0(SALU_CYCLE_1) | instskip(SKIP_2) | instid1(SALU_CYCLE_1)
	s_or_b32 s7, s12, s7
	s_lshr_b32 s12, s4, 24
	s_and_b32 s7, s7, 0xffff
	s_or_b32 s3, s7, s3
	s_cmp_lg_u32 s2, 11
	s_cselect_b32 s7, s12, 0xffff
	s_lshr_b32 s12, s4, 16
	s_lshl_b32 s7, s7, 24
	s_cmp_lg_u32 s2, 10
	s_cselect_b32 s12, s12, 0xffff
	s_lshr_b32 s27, s4, 8
	s_and_b32 s12, s12, 0xff
	s_delay_alu instid0(SALU_CYCLE_1) | instskip(NEXT) | instid1(SALU_CYCLE_1)
	s_lshl_b32 s12, s12, 16
	s_or_b32 s7, s7, s12
	s_cmp_lg_u32 s2, 9
	s_cselect_b32 s12, s27, 0xffff
	s_delay_alu instid0(SALU_CYCLE_1) | instskip(SKIP_2) | instid1(SALU_CYCLE_1)
	s_lshl_b32 s12, s12, 8
	s_cmp_lg_u32 s2, 8
	s_cselect_b32 s4, s4, 0xffff
	s_and_b32 s4, s4, 0xff
	s_delay_alu instid0(SALU_CYCLE_1) | instskip(NEXT) | instid1(SALU_CYCLE_1)
	s_or_b32 s4, s4, s12
	s_and_b32 s4, s4, 0xffff
	s_delay_alu instid0(SALU_CYCLE_1) | instskip(SKIP_2) | instid1(SALU_CYCLE_1)
	s_or_b32 s4, s4, s7
	s_cmp_lg_u32 s2, 15
	s_cselect_b32 s7, s34, 0xffff
	s_lshl_b32 s7, s7, 24
	s_cmp_lg_u32 s2, 14
	s_cselect_b32 s9, s31, 0xffff
	s_delay_alu instid0(SALU_CYCLE_1) | instskip(NEXT) | instid1(SALU_CYCLE_1)
	s_and_b32 s8, s9, 0xff
	s_lshl_b32 s8, s8, 16
	s_delay_alu instid0(SALU_CYCLE_1) | instskip(SKIP_2) | instid1(SALU_CYCLE_1)
	s_or_b32 s7, s7, s8
	s_cmp_lg_u32 s2, 13
	s_cselect_b32 s8, s29, 0xffff
	s_lshl_b32 s8, s8, 8
	s_cmp_lg_u32 s2, 12
	s_cselect_b32 s2, s5, 0xffff
	s_delay_alu instid0(SALU_CYCLE_1) | instskip(NEXT) | instid1(SALU_CYCLE_1)
	s_and_b32 s2, s2, 0xff
	s_or_b32 s2, s2, s8
	s_delay_alu instid0(SALU_CYCLE_1) | instskip(NEXT) | instid1(SALU_CYCLE_1)
	s_and_b32 s2, s2, 0xffff
	s_or_b32 s2, s2, s7
	s_cmp_eq_u32 s35, 0
	s_cselect_b32 vcc_lo, -1, 0
	v_or_b32_e32 v1, v8, v1
	v_or_b32_e32 v2, v2, v3
	v_or_b32_e32 v3, v6, v7
	v_or_b32_e32 v6, v4, v5
	s_cselect_b32 s3, s30, s3
	v_cndmask_b32_e32 v5, s2, v1, vcc_lo
	v_cndmask_b32_e32 v2, s6, v2, vcc_lo
	;; [unrolled: 1-line block ×3, first 2 shown]
	s_lshr_b32 s2, s3, 24
	s_lshr_b32 s4, s3, 16
	v_dual_lshrrev_b32 v25, 16, v5 :: v_dual_cndmask_b32 v3, s13, v6, vcc_lo
	v_lshrrev_b32_e32 v24, 8, v5
	v_lshrrev_b64 v[8:9], 24, v[4:5]
	v_dual_lshrrev_b32 v26, 24, v5 :: v_dual_lshrrev_b32 v23, 16, v4
	v_lshrrev_b32_e32 v22, 8, v4
	v_lshrrev_b64 v[6:7], 24, v[2:3]
	v_dual_lshrrev_b32 v21, 24, v3 :: v_dual_lshrrev_b32 v20, 16, v3
	v_dual_lshrrev_b32 v17, 8, v3 :: v_dual_lshrrev_b32 v9, 16, v2
	v_lshrrev_b32_e32 v7, 8, v2
	s_lshr_b32 s5, s3, 8
.LBB0_8:
	s_clause 0x1
	s_load_b128 s[20:23], s[0:1], 0x10
	s_load_b64 s[28:29], s[0:1], 0x20
	v_ashrrev_i32_e32 v1, 31, v0
	s_cmp_lt_i32 s26, 1
	s_wait_kmcnt 0x0
	s_delay_alu instid0(VALU_DEP_1)
	v_lshl_add_u64 v[10:11], v[0:1], 4, s[20:21]
	global_load_b32 v27, v[10:11], off
	s_cbranch_scc1 .LBB0_13
; %bb.9:
	s_cmp_eq_u32 s26, 1
	s_cbranch_scc1 .LBB0_14
; %bb.10:
	v_dual_mov_b32 v28, s3 :: v_dual_mov_b32 v29, s5
	v_dual_mov_b32 v30, s4 :: v_dual_mov_b32 v31, s2
	s_and_b32 s19, s26, 0x7ffffffe
	s_mov_b64 s[20:21], 0
.LBB0_11:                               ; =>This Inner Loop Header: Depth=1
	s_delay_alu instid0(SALU_CYCLE_1)
	v_add_nc_u64_e32 v[12:13], s[20:21], v[10:11]
	s_cmp_eq_u32 s20, 19
	s_cselect_b32 vcc_lo, -1, 0
	s_cmp_eq_u32 s20, 18
	s_cselect_b32 s0, -1, 0
	global_load_u16 v12, v[12:13], off offset:4
	s_cmp_eq_u32 s20, 17
	s_cselect_b32 s1, -1, 0
	s_cmp_eq_u32 s20, 16
	s_cselect_b32 s2, -1, 0
	s_cmp_eq_u32 s20, 15
	s_cselect_b32 s3, -1, 0
	s_cmp_eq_u32 s20, 14
	s_cselect_b32 s4, -1, 0
	s_cmp_eq_u32 s20, 13
	s_cselect_b32 s5, -1, 0
	s_cmp_eq_u32 s20, 12
	s_cselect_b32 s6, -1, 0
	s_cmp_eq_u32 s20, 11
	s_cselect_b32 s7, -1, 0
	s_cmp_eq_u32 s20, 10
	s_cselect_b32 s8, -1, 0
	s_cmp_eq_u32 s20, 9
	s_cselect_b32 s9, -1, 0
	s_cmp_eq_u32 s20, 8
	s_cselect_b32 s10, -1, 0
	s_cmp_eq_u32 s20, 7
	s_cselect_b32 s11, -1, 0
	s_cmp_eq_u32 s20, 6
	s_cselect_b32 s12, -1, 0
	s_cmp_eq_u32 s20, 5
	s_cselect_b32 s13, -1, 0
	s_cmp_eq_u32 s20, 4
	s_cselect_b32 s14, -1, 0
	s_cmp_eq_u32 s20, 3
	s_cselect_b32 s15, -1, 0
	s_cmp_eq_u32 s20, 0
	s_cselect_b32 s16, -1, 0
	s_cmp_eq_u32 s20, 1
	s_cselect_b32 s17, -1, 0
	s_cmp_eq_u32 s20, 2
	s_cselect_b32 s18, -1, 0
	s_add_co_i32 s25, s20, 1
	s_add_nc_u64 s[20:21], s[20:21], 2
	s_cmp_eq_u32 s25, 2
	s_wait_loadcnt 0x0
	v_dual_cndmask_b32 v14, v31, v12, vcc_lo :: v_dual_cndmask_b32 v15, v30, v12, s0
	s_cselect_b32 vcc_lo, -1, 0
	s_cmp_eq_u32 s25, 1
	v_lshrrev_b16 v13, 8, v12
	v_dual_cndmask_b32 v6, v6, v12, s15 :: v_dual_cndmask_b32 v9, v9, v12, s18
	s_cselect_b32 s0, -1, 0
	s_cmp_eq_u32 s25, 0
	v_dual_cndmask_b32 v16, v29, v12, s1 :: v_dual_cndmask_b32 v18, v28, v12, s2
	s_cselect_b32 s1, -1, 0
	s_cmp_eq_u32 s25, 3
	v_dual_cndmask_b32 v17, v17, v12, s13 :: v_dual_cndmask_b32 v3, v3, v12, s14
	v_dual_cndmask_b32 v2, v2, v12, s16 :: v_dual_cndmask_b32 v7, v7, v12, s17
	v_cndmask_b32_e32 v9, v9, v13, vcc_lo
	s_cselect_b32 vcc_lo, -1, 0
	s_cmp_eq_u32 s25, 4
	v_cndmask_b32_e32 v6, v6, v13, vcc_lo
	s_cselect_b32 vcc_lo, -1, 0
	s_cmp_eq_u32 s25, 5
	v_dual_cndmask_b32 v21, v21, v12, s11 :: v_dual_cndmask_b32 v20, v20, v12, s12
	v_dual_cndmask_b32 v2, v2, v13, s1 :: v_dual_cndmask_b32 v3, v3, v13, vcc_lo
	s_cselect_b32 vcc_lo, -1, 0
	s_cmp_eq_u32 s25, 6
	v_cndmask_b32_e32 v17, v17, v13, vcc_lo
	s_cselect_b32 vcc_lo, -1, 0
	s_cmp_eq_u32 s25, 7
	v_dual_cndmask_b32 v22, v22, v12, s9 :: v_dual_cndmask_b32 v4, v4, v12, s10
	v_cndmask_b32_e32 v20, v20, v13, vcc_lo
	s_cselect_b32 vcc_lo, -1, 0
	s_cmp_eq_u32 s25, 8
	v_cndmask_b32_e32 v21, v21, v13, vcc_lo
	s_cselect_b32 vcc_lo, -1, 0
	s_cmp_eq_u32 s25, 9
	v_dual_cndmask_b32 v8, v8, v12, s7 :: v_dual_cndmask_b32 v23, v23, v12, s8
	v_cndmask_b32_e32 v4, v4, v13, vcc_lo
	s_cselect_b32 vcc_lo, -1, 0
	s_cmp_eq_u32 s25, 10
	v_cndmask_b32_e32 v22, v22, v13, vcc_lo
	s_cselect_b32 vcc_lo, -1, 0
	s_cmp_eq_u32 s25, 11
	v_dual_cndmask_b32 v24, v24, v12, s5 :: v_dual_cndmask_b32 v5, v5, v12, s6
	v_cndmask_b32_e32 v23, v23, v13, vcc_lo
	s_cselect_b32 vcc_lo, -1, 0
	s_cmp_eq_u32 s25, 12
	v_cndmask_b32_e32 v8, v8, v13, vcc_lo
	s_cselect_b32 vcc_lo, -1, 0
	s_cmp_eq_u32 s25, 13
	v_dual_cndmask_b32 v19, v26, v12, s3 :: v_dual_cndmask_b32 v25, v25, v12, s4
	v_cndmask_b32_e32 v5, v5, v13, vcc_lo
	s_cselect_b32 vcc_lo, -1, 0
	s_cmp_eq_u32 s25, 14
	v_cndmask_b32_e32 v24, v24, v13, vcc_lo
	s_cselect_b32 vcc_lo, -1, 0
	s_cmp_eq_u32 s25, 15
	v_cndmask_b32_e32 v25, v25, v13, vcc_lo
	;; [unrolled: 3-line block ×6, first 2 shown]
	s_cselect_b32 vcc_lo, -1, 0
	s_delay_alu instid0(SALU_CYCLE_1)
	v_dual_cndmask_b32 v7, v7, v13, s0 :: v_dual_cndmask_b32 v31, v14, v13, vcc_lo
	s_cmp_lg_u32 s19, s20
	s_cbranch_scc1 .LBB0_11
; %bb.12:
	s_mov_b32 s21, 0
	s_bitcmp0_b32 s26, 0
	s_cbranch_scc0 .LBB0_15
	s_branch .LBB0_16
.LBB0_13:
	v_dual_mov_b32 v28, s3 :: v_dual_mov_b32 v29, s5
	v_dual_mov_b32 v30, s4 :: v_dual_mov_b32 v31, s2
	s_branch .LBB0_16
.LBB0_14:
	v_dual_mov_b32 v28, s3 :: v_dual_mov_b32 v29, s5
	v_dual_mov_b32 v30, s4 :: v_dual_mov_b32 v31, s2
	s_mov_b64 s[20:21], 0
	s_bitcmp0_b32 s26, 0
	s_cbranch_scc1 .LBB0_16
.LBB0_15:
	s_wait_xcnt 0x0
	v_add_nc_u64_e32 v[10:11], s[20:21], v[10:11]
	s_cmp_eq_u32 s20, 2
	s_cselect_b32 vcc_lo, -1, 0
	s_cmp_eq_u32 s20, 1
	s_cselect_b32 s0, -1, 0
	global_load_u8 v10, v[10:11], off offset:4
	s_cmp_eq_u32 s20, 0
	s_cselect_b32 s1, -1, 0
	s_cmp_eq_u32 s20, 3
	s_cselect_b32 s2, -1, 0
	s_cmp_eq_u32 s20, 4
	s_cselect_b32 s3, -1, 0
	s_cmp_eq_u32 s20, 5
	s_cselect_b32 s4, -1, 0
	s_cmp_eq_u32 s20, 6
	s_cselect_b32 s5, -1, 0
	s_cmp_eq_u32 s20, 7
	s_cselect_b32 s6, -1, 0
	s_cmp_eq_u32 s20, 8
	s_cselect_b32 s7, -1, 0
	s_cmp_eq_u32 s20, 9
	s_cselect_b32 s8, -1, 0
	s_cmp_eq_u32 s20, 10
	s_cselect_b32 s9, -1, 0
	s_cmp_eq_u32 s20, 11
	s_cselect_b32 s10, -1, 0
	s_cmp_eq_u32 s20, 12
	s_cselect_b32 s11, -1, 0
	s_cmp_eq_u32 s20, 13
	s_cselect_b32 s12, -1, 0
	s_cmp_eq_u32 s20, 14
	s_cselect_b32 s13, -1, 0
	s_cmp_eq_u32 s20, 15
	s_cselect_b32 s14, -1, 0
	s_cmp_eq_u32 s20, 16
	s_cselect_b32 s15, -1, 0
	s_cmp_eq_u32 s20, 17
	s_cselect_b32 s16, -1, 0
	s_cmp_eq_u32 s20, 18
	s_cselect_b32 s17, -1, 0
	s_cmp_eq_u32 s20, 19
	s_wait_loadcnt 0x0
	v_dual_cndmask_b32 v9, v9, v10, vcc_lo :: v_dual_cndmask_b32 v7, v7, v10, s0
	s_cselect_b32 vcc_lo, -1, 0
	v_dual_cndmask_b32 v2, v2, v10, s1 :: v_dual_cndmask_b32 v3, v3, v10, s3
	v_dual_cndmask_b32 v6, v6, v10, s2 :: v_dual_cndmask_b32 v17, v17, v10, s4
	;; [unrolled: 1-line block ×8, first 2 shown]
	v_dual_cndmask_b32 v30, v30, v10, s17 :: v_dual_cndmask_b32 v31, v31, v10, vcc_lo
.LBB0_16:
	s_wait_xcnt 0x0
	v_mov_b64_e32 v[10:11], 0
	v_mov_b64_e32 v[12:13], 0
	v_dual_mov_b32 v16, s26 :: v_dual_mov_b32 v15, 0
	s_mov_b32 s18, 0
	s_branch .LBB0_18
.LBB0_17:                               ;   in Loop: Header=BB0_18 Depth=1
	s_or_b32 exec_lo, exec_lo, s0
	v_cmp_gt_i32_e32 vcc_lo, s26, v14
	v_mov_b32_e32 v16, v14
	s_or_b32 s18, vcc_lo, s18
	s_delay_alu instid0(SALU_CYCLE_1)
	s_and_not1_b32 exec_lo, exec_lo, s18
	s_cbranch_execz .LBB0_38
.LBB0_18:                               ; =>This Loop Header: Depth=1
                                        ;     Child Loop BB0_24 Depth 2
                                        ;     Child Loop BB0_28 Depth 2
	s_delay_alu instid0(VALU_DEP_1)
	v_cmp_eq_u32_e32 vcc_lo, 1, v16
	v_cmp_eq_u32_e64 s0, 2, v16
	v_cmp_eq_u32_e64 s17, 19, v16
	;; [unrolled: 1-line block ×4, first 2 shown]
	v_cndmask_b32_e32 v14, v2, v7, vcc_lo
	v_cmp_eq_u32_e64 s2, 4, v16
	v_cmp_eq_u32_e64 s3, 5, v16
	v_cmp_eq_u32_e64 s14, 16, v16
	v_cmp_eq_u32_e64 s4, 6, v16
	v_cndmask_b32_e64 v14, v14, v9, s0
	v_cmp_eq_u32_e64 s12, 14, v16
	v_cmp_eq_u32_e64 s5, 7, v16
	v_cmp_eq_u32_e64 s11, 13, v16
	v_cmp_eq_u32_e64 s6, 8, v16
	v_cndmask_b32_e64 v14, v14, v6, s1
	;; [unrolled: 5-line block ×3, first 2 shown]
	v_cmp_eq_u32_e64 s13, 15, v16
	v_cmp_eq_u32_e64 s16, 18, v16
	s_delay_alu instid0(VALU_DEP_3) | instskip(NEXT) | instid1(VALU_DEP_1)
	v_cndmask_b32_e64 v14, v14, v17, s3
	v_cndmask_b32_e64 v14, v14, v20, s4
	s_delay_alu instid0(VALU_DEP_1) | instskip(NEXT) | instid1(VALU_DEP_1)
	v_cndmask_b32_e64 v14, v14, v21, s5
	v_cndmask_b32_e64 v14, v14, v4, s6
	s_delay_alu instid0(VALU_DEP_1) | instskip(NEXT) | instid1(VALU_DEP_1)
	;; [unrolled: 3-line block ×7, first 2 shown]
	v_cndmask_b32_e64 v14, v14, v31, s17
	v_add_nc_u16 v18, v14, 1
                                        ; implicit-def: $vgpr14
	s_delay_alu instid0(VALU_DEP_1)
	v_cndmask_b32_e32 v7, v7, v18, vcc_lo
	v_cmp_eq_u32_e32 vcc_lo, 0, v16
	v_dual_cndmask_b32 v31, v31, v18, s17 :: v_dual_cndmask_b32 v30, v30, v18, s16
	v_dual_cndmask_b32 v29, v29, v18, s15 :: v_dual_cndmask_b32 v28, v28, v18, s14
	;; [unrolled: 1-line block ×8, first 2 shown]
	v_cndmask_b32_e64 v6, v6, v18, s1
	v_bfe_i32 v32, v18, 0, 8
	v_dual_cndmask_b32 v9, v9, v18, s0 :: v_dual_cndmask_b32 v2, v2, v18, vcc_lo
	s_mov_b32 s3, 0
	s_mov_b32 s0, exec_lo
	s_delay_alu instid0(VALU_DEP_2)
	v_cmpx_ne_u32_e64 s24, v32
	s_xor_b32 s4, exec_lo, s0
	s_cbranch_execnz .LBB0_21
; %bb.19:                               ;   in Loop: Header=BB0_18 Depth=1
	s_and_not1_saveexec_b32 s4, s4
	s_cbranch_execnz .LBB0_36
.LBB0_20:                               ;   in Loop: Header=BB0_18 Depth=1
	s_or_b32 exec_lo, exec_lo, s4
	s_and_saveexec_b32 s0, s3
	s_cbranch_execz .LBB0_17
	s_branch .LBB0_37
.LBB0_21:                               ;   in Loop: Header=BB0_18 Depth=1
	s_wait_loadcnt 0x0
	v_bfe_u32 v14, v27, v32, 1
	s_mov_b32 s0, 0
	s_delay_alu instid0(VALU_DEP_1)
	v_cmp_eq_u32_e32 vcc_lo, 0, v14
	v_mov_b32_e32 v14, v16
	s_and_saveexec_b32 s5, vcc_lo
	s_cbranch_execz .LBB0_35
; %bb.22:                               ;   in Loop: Header=BB0_18 Depth=1
	v_cmp_lt_i32_e32 vcc_lo, 0, v16
	s_mov_b32 s2, -1
	s_and_saveexec_b32 s6, vcc_lo
	s_cbranch_execz .LBB0_26
; %bb.23:                               ;   in Loop: Header=BB0_18 Depth=1
	v_cmp_eq_u32_e64 s0, 1, v16
	s_mov_b32 s7, -1
	s_mov_b64 s[2:3], 0
	s_mov_b32 s8, 0
                                        ; implicit-def: $sgpr9
	v_cndmask_b32_e64 v14, v2, v7, s0
	v_cmp_eq_u32_e64 s0, 2, v16
	s_delay_alu instid0(VALU_DEP_1) | instskip(SKIP_1) | instid1(VALU_DEP_1)
	v_cndmask_b32_e64 v14, v14, v9, s0
	v_cmp_eq_u32_e64 s0, 3, v16
	v_cndmask_b32_e64 v14, v14, v6, s0
	v_cmp_eq_u32_e64 s0, 4, v16
	s_delay_alu instid0(VALU_DEP_1) | instskip(SKIP_1) | instid1(VALU_DEP_1)
	v_cndmask_b32_e64 v14, v14, v3, s0
	v_cmp_eq_u32_e64 s0, 5, v16
	;; [unrolled: 5-line block ×9, first 2 shown]
	v_cndmask_b32_e64 v18, v14, v31, s0
.LBB0_24:                               ;   Parent Loop BB0_18 Depth=1
                                        ; =>  This Inner Loop Header: Depth=2
	s_cmp_eq_u32 s2, 1
	s_delay_alu instid0(VALU_DEP_1)
	v_and_b32_e32 v19, 0xff, v18
	s_cselect_b32 s0, -1, 0
	s_cmp_eq_u32 s2, 2
	v_cndmask_b32_e64 v14, v2, v7, s0
	s_cselect_b32 s0, -1, 0
	s_cmp_eq_u32 s2, 3
	s_delay_alu instid0(VALU_DEP_1) | instskip(SKIP_2) | instid1(VALU_DEP_1)
	v_cndmask_b32_e64 v14, v14, v9, s0
	s_cselect_b32 s0, -1, 0
	s_cmp_eq_u32 s2, 4
	v_cndmask_b32_e64 v14, v14, v6, s0
	s_cselect_b32 s0, -1, 0
	s_cmp_eq_u32 s2, 5
	s_delay_alu instid0(VALU_DEP_1) | instskip(SKIP_2) | instid1(VALU_DEP_1)
	v_cndmask_b32_e64 v14, v14, v3, s0
	;; [unrolled: 7-line block ×8, first 2 shown]
	s_cselect_b32 s0, -1, 0
	s_cmp_eq_u32 s2, 18
	v_cndmask_b32_e64 v14, v14, v29, s0
	s_cselect_b32 s0, -1, 0
	s_cmp_eq_u32 s2, 19
	s_add_nc_u64 s[2:3], s[2:3], 1
	s_delay_alu instid0(SALU_CYCLE_1)
	v_cmp_eq_u32_e64 s1, s2, v16
	v_cndmask_b32_e64 v14, v14, v30, s0
	s_cselect_b32 s0, -1, 0
	s_delay_alu instid0(VALU_DEP_1) | instid1(SALU_CYCLE_1)
	v_cndmask_b32_e64 v14, v14, v31, s0
	s_delay_alu instid0(VALU_DEP_1) | instskip(NEXT) | instid1(VALU_DEP_1)
	v_and_b32_e32 v14, 0xff, v14
	v_cmp_ne_u16_e64 s0, v14, v19
	s_and_b32 s7, s0, s7
	s_or_b32 s8, s1, s8
	s_and_not1_b32 s0, s9, exec_lo
	s_and_b32 s1, s7, exec_lo
	s_delay_alu instid0(SALU_CYCLE_1)
	s_or_b32 s9, s0, s1
	s_and_not1_b32 exec_lo, exec_lo, s8
	s_cbranch_execnz .LBB0_24
; %bb.25:                               ;   in Loop: Header=BB0_18 Depth=1
	s_or_b32 exec_lo, exec_lo, s8
	s_delay_alu instid0(SALU_CYCLE_1)
	s_or_not1_b32 s2, s9, exec_lo
.LBB0_26:                               ;   in Loop: Header=BB0_18 Depth=1
	s_or_b32 exec_lo, exec_lo, s6
	v_add_nc_u32_e32 v33, 1, v16
	s_and_saveexec_b32 s3, vcc_lo
	s_cbranch_execz .LBB0_30
; %bb.27:                               ;   in Loop: Header=BB0_18 Depth=1
	v_bfe_i32 v18, v18, 0, 8
	v_dual_add_nc_u32 v14, -1, v16 :: v_dual_add_nc_u32 v34, 1, v16
	s_mov_b32 s6, 0
	s_mov_b32 s8, s2
	s_delay_alu instid0(VALU_DEP_2) | instskip(NEXT) | instid1(VALU_DEP_2)
	v_dual_add_nc_u32 v35, 1, v18 :: v_dual_add_nc_u32 v36, -1, v18
	v_mov_b64_e32 v[18:19], v[14:15]
                                        ; implicit-def: $sgpr7
.LBB0_28:                               ;   Parent Loop BB0_18 Depth=1
                                        ; =>  This Inner Loop Header: Depth=2
	s_delay_alu instid0(VALU_DEP_1) | instskip(SKIP_2) | instid1(VALU_DEP_2)
	v_cmp_eq_u32_e32 vcc_lo, 1, v18
	v_dual_add_nc_u32 v34, -1, v34 :: v_dual_cndmask_b32 v14, v2, v7, vcc_lo
	v_cmp_eq_u32_e32 vcc_lo, 2, v18
	v_cndmask_b32_e32 v14, v14, v9, vcc_lo
	v_cmp_eq_u32_e32 vcc_lo, 3, v18
	s_delay_alu instid0(VALU_DEP_2) | instskip(SKIP_1) | instid1(VALU_DEP_2)
	v_cndmask_b32_e32 v14, v14, v6, vcc_lo
	v_cmp_eq_u32_e32 vcc_lo, 4, v18
	v_cndmask_b32_e32 v14, v14, v3, vcc_lo
	v_cmp_eq_u32_e32 vcc_lo, 5, v18
	s_delay_alu instid0(VALU_DEP_2) | instskip(SKIP_1) | instid1(VALU_DEP_2)
	v_cndmask_b32_e32 v14, v14, v17, vcc_lo
	;; [unrolled: 5-line block ×8, first 2 shown]
	v_cmp_eq_u32_e32 vcc_lo, 18, v18
	v_cndmask_b32_e32 v14, v14, v30, vcc_lo
	v_cmp_eq_u32_e32 vcc_lo, 19, v18
	v_add_nc_u64_e32 v[18:19], -1, v[18:19]
	s_delay_alu instid0(VALU_DEP_3) | instskip(SKIP_1) | instid1(VALU_DEP_2)
	v_cndmask_b32_e32 v14, v14, v31, vcc_lo
	v_cmp_gt_u32_e32 vcc_lo, 2, v34
	v_bfe_i32 v14, v14, 0, 8
	s_delay_alu instid0(VALU_DEP_1) | instskip(SKIP_3) | instid1(SALU_CYCLE_1)
	v_cmp_ne_u32_e64 s0, v36, v14
	v_cmp_ne_u32_e64 s1, v35, v14
	v_dual_add_nc_u32 v35, 1, v35 :: v_dual_add_nc_u32 v36, -1, v36
	s_and_b32 s0, s0, s1
	s_and_b32 s8, s0, s8
	s_or_b32 s6, vcc_lo, s6
	s_and_not1_b32 s0, s7, exec_lo
	s_and_b32 s1, s8, exec_lo
	s_delay_alu instid0(SALU_CYCLE_1)
	s_or_b32 s7, s0, s1
	s_and_not1_b32 exec_lo, exec_lo, s6
	s_cbranch_execnz .LBB0_28
; %bb.29:                               ;   in Loop: Header=BB0_18 Depth=1
	s_or_b32 exec_lo, exec_lo, s6
	s_delay_alu instid0(SALU_CYCLE_1) | instskip(SKIP_1) | instid1(SALU_CYCLE_1)
	s_and_not1_b32 s0, s2, exec_lo
	s_and_b32 s1, s7, exec_lo
	s_or_b32 s2, s0, s1
.LBB0_30:                               ;   in Loop: Header=BB0_18 Depth=1
	s_or_b32 exec_lo, exec_lo, s3
	v_mov_b32_e32 v14, v16
	s_mov_b32 s1, 0
	s_and_saveexec_b32 s0, s2
	s_cbranch_execz .LBB0_34
; %bb.31:                               ;   in Loop: Header=BB0_18 Depth=1
	s_mov_b32 s2, exec_lo
	v_cmpx_eq_u32_e64 s24, v33
	s_xor_b32 s2, exec_lo, s2
; %bb.32:                               ;   in Loop: Header=BB0_18 Depth=1
	s_mov_b32 s1, exec_lo
	v_add_nc_u64_e32 v[10:11], 1, v[10:11]
	v_mov_b32_e32 v33, v16
; %bb.33:                               ;   in Loop: Header=BB0_18 Depth=1
	s_or_b32 exec_lo, exec_lo, s2
	v_lshlrev_b64_e64 v[18:19], v32, 1
	v_add_nc_u64_e32 v[12:13], 1, v[12:13]
	s_and_b32 s1, s1, exec_lo
	s_delay_alu instid0(VALU_DEP_2)
	v_dual_mov_b32 v14, v33 :: v_dual_bitop2_b32 v27, v27, v18 bitop3:0x54
.LBB0_34:                               ;   in Loop: Header=BB0_18 Depth=1
	s_or_b32 exec_lo, exec_lo, s0
	s_delay_alu instid0(SALU_CYCLE_1)
	s_and_b32 s0, s1, exec_lo
.LBB0_35:                               ;   in Loop: Header=BB0_18 Depth=1
	s_or_b32 exec_lo, exec_lo, s5
	s_delay_alu instid0(SALU_CYCLE_1)
	s_and_b32 s3, s0, exec_lo
	s_and_not1_saveexec_b32 s4, s4
	s_cbranch_execz .LBB0_20
.LBB0_36:                               ;   in Loop: Header=BB0_18 Depth=1
	v_cmp_ne_u32_e32 vcc_lo, 2, v16
	v_cmp_ne_u32_e64 s0, 17, v16
	v_cmp_ne_u32_e64 s1, 18, v16
	;; [unrolled: 1-line block ×3, first 2 shown]
	s_or_b32 s3, s3, exec_lo
	v_cndmask_b32_e32 v9, -1, v9, vcc_lo
	v_cmp_ne_u32_e32 vcc_lo, 1, v16
	v_dual_cndmask_b32 v29, -1, v29, s0 :: v_dual_cndmask_b32 v30, -1, v30, s1
	v_cndmask_b32_e32 v7, -1, v7, vcc_lo
	v_cmp_ne_u32_e32 vcc_lo, 0, v16
	v_cndmask_b32_e32 v2, -1, v2, vcc_lo
	v_cmp_ne_u32_e32 vcc_lo, 3, v16
	v_cndmask_b32_e32 v6, -1, v6, vcc_lo
	v_cmp_ne_u32_e32 vcc_lo, 4, v16
	v_cndmask_b32_e32 v3, -1, v3, vcc_lo
	v_cmp_ne_u32_e32 vcc_lo, 5, v16
	v_cndmask_b32_e32 v17, -1, v17, vcc_lo
	v_cmp_ne_u32_e32 vcc_lo, 6, v16
	v_cndmask_b32_e32 v20, -1, v20, vcc_lo
	v_cmp_ne_u32_e32 vcc_lo, 7, v16
	v_cndmask_b32_e32 v21, -1, v21, vcc_lo
	v_cmp_ne_u32_e32 vcc_lo, 8, v16
	v_cndmask_b32_e32 v4, -1, v4, vcc_lo
	v_cmp_ne_u32_e32 vcc_lo, 9, v16
	v_cndmask_b32_e32 v22, -1, v22, vcc_lo
	v_cmp_ne_u32_e32 vcc_lo, 10, v16
	v_cndmask_b32_e32 v23, -1, v23, vcc_lo
	v_cmp_ne_u32_e32 vcc_lo, 11, v16
	v_cndmask_b32_e32 v8, -1, v8, vcc_lo
	v_cmp_ne_u32_e32 vcc_lo, 12, v16
	v_cndmask_b32_e32 v5, -1, v5, vcc_lo
	v_cmp_ne_u32_e32 vcc_lo, 13, v16
	v_cndmask_b32_e32 v24, -1, v24, vcc_lo
	v_cmp_ne_u32_e32 vcc_lo, 14, v16
	v_cndmask_b32_e32 v25, -1, v25, vcc_lo
	v_cmp_ne_u32_e32 vcc_lo, 15, v16
	v_cndmask_b32_e32 v26, -1, v26, vcc_lo
	v_cmp_ne_u32_e32 vcc_lo, 16, v16
	v_dual_add_nc_u32 v16, -1, v16 :: v_dual_cndmask_b32 v31, -1, v31, s2
	s_delay_alu instid0(VALU_DEP_1)
	v_dual_cndmask_b32 v28, -1, v28, vcc_lo :: v_dual_mov_b32 v14, v16
	s_or_b32 exec_lo, exec_lo, s4
	s_and_saveexec_b32 s0, s3
	s_cbranch_execz .LBB0_17
.LBB0_37:                               ;   in Loop: Header=BB0_18 Depth=1
	v_cmp_eq_u32_e32 vcc_lo, 1, v16
	v_cndmask_b32_e32 v18, v2, v7, vcc_lo
	v_cmp_eq_u32_e32 vcc_lo, 2, v16
	s_delay_alu instid0(VALU_DEP_2) | instskip(SKIP_1) | instid1(VALU_DEP_2)
	v_cndmask_b32_e32 v18, v18, v9, vcc_lo
	v_cmp_eq_u32_e32 vcc_lo, 3, v16
	v_cndmask_b32_e32 v18, v18, v6, vcc_lo
	v_cmp_eq_u32_e32 vcc_lo, 4, v16
	s_delay_alu instid0(VALU_DEP_2) | instskip(SKIP_1) | instid1(VALU_DEP_2)
	v_cndmask_b32_e32 v18, v18, v3, vcc_lo
	;; [unrolled: 5-line block ×9, first 2 shown]
	v_cmp_eq_u32_e32 vcc_lo, 19, v16
	v_cndmask_b32_e32 v16, v18, v31, vcc_lo
	s_delay_alu instid0(VALU_DEP_1) | instskip(NEXT) | instid1(VALU_DEP_1)
	v_bfe_i32 v16, v16, 0, 8
	v_lshlrev_b64_e64 v[18:19], v16, 1
	s_wait_loadcnt 0x0
	s_delay_alu instid0(VALU_DEP_1)
	v_bitop3_b32 v27, v27, v18, v27 bitop3:0x30
	s_branch .LBB0_17
.LBB0_38:
	s_or_b32 exec_lo, exec_lo, s18
	v_lshlrev_b64_e32 v[0:1], 3, v[0:1]
	s_delay_alu instid0(VALU_DEP_1)
	v_add_nc_u64_e32 v[2:3], s[28:29], v[0:1]
	v_add_nc_u64_e32 v[0:1], s[22:23], v[0:1]
	global_store_b64 v[2:3], v[10:11], off
	global_store_b64 v[0:1], v[12:13], off
.LBB0_39:
	s_endpgm
	.section	.rodata,"a",@progbits
	.p2align	6, 0x0
	.amdhsa_kernel _Z18BP_queens_root_dfsijiPK10queen_rootPyS2_
		.amdhsa_group_segment_fixed_size 0
		.amdhsa_private_segment_fixed_size 0
		.amdhsa_kernarg_size 296
		.amdhsa_user_sgpr_count 2
		.amdhsa_user_sgpr_dispatch_ptr 0
		.amdhsa_user_sgpr_queue_ptr 0
		.amdhsa_user_sgpr_kernarg_segment_ptr 1
		.amdhsa_user_sgpr_dispatch_id 0
		.amdhsa_user_sgpr_kernarg_preload_length 0
		.amdhsa_user_sgpr_kernarg_preload_offset 0
		.amdhsa_user_sgpr_private_segment_size 0
		.amdhsa_wavefront_size32 1
		.amdhsa_uses_dynamic_stack 0
		.amdhsa_enable_private_segment 0
		.amdhsa_system_sgpr_workgroup_id_x 1
		.amdhsa_system_sgpr_workgroup_id_y 0
		.amdhsa_system_sgpr_workgroup_id_z 0
		.amdhsa_system_sgpr_workgroup_info 0
		.amdhsa_system_vgpr_workitem_id 0
		.amdhsa_next_free_vgpr 37
		.amdhsa_next_free_sgpr 50
		.amdhsa_named_barrier_count 0
		.amdhsa_reserve_vcc 1
		.amdhsa_float_round_mode_32 0
		.amdhsa_float_round_mode_16_64 0
		.amdhsa_float_denorm_mode_32 3
		.amdhsa_float_denorm_mode_16_64 3
		.amdhsa_fp16_overflow 0
		.amdhsa_memory_ordered 1
		.amdhsa_forward_progress 1
		.amdhsa_inst_pref_size 44
		.amdhsa_round_robin_scheduling 0
		.amdhsa_exception_fp_ieee_invalid_op 0
		.amdhsa_exception_fp_denorm_src 0
		.amdhsa_exception_fp_ieee_div_zero 0
		.amdhsa_exception_fp_ieee_overflow 0
		.amdhsa_exception_fp_ieee_underflow 0
		.amdhsa_exception_fp_ieee_inexact 0
		.amdhsa_exception_int_div_zero 0
	.end_amdhsa_kernel
	.text
.Lfunc_end0:
	.size	_Z18BP_queens_root_dfsijiPK10queen_rootPyS2_, .Lfunc_end0-_Z18BP_queens_root_dfsijiPK10queen_rootPyS2_
                                        ; -- End function
	.set _Z18BP_queens_root_dfsijiPK10queen_rootPyS2_.num_vgpr, 37
	.set _Z18BP_queens_root_dfsijiPK10queen_rootPyS2_.num_agpr, 0
	.set _Z18BP_queens_root_dfsijiPK10queen_rootPyS2_.numbered_sgpr, 50
	.set _Z18BP_queens_root_dfsijiPK10queen_rootPyS2_.num_named_barrier, 0
	.set _Z18BP_queens_root_dfsijiPK10queen_rootPyS2_.private_seg_size, 0
	.set _Z18BP_queens_root_dfsijiPK10queen_rootPyS2_.uses_vcc, 1
	.set _Z18BP_queens_root_dfsijiPK10queen_rootPyS2_.uses_flat_scratch, 0
	.set _Z18BP_queens_root_dfsijiPK10queen_rootPyS2_.has_dyn_sized_stack, 0
	.set _Z18BP_queens_root_dfsijiPK10queen_rootPyS2_.has_recursion, 0
	.set _Z18BP_queens_root_dfsijiPK10queen_rootPyS2_.has_indirect_call, 0
	.section	.AMDGPU.csdata,"",@progbits
; Kernel info:
; codeLenInByte = 5600
; TotalNumSgprs: 52
; NumVgprs: 37
; ScratchSize: 0
; MemoryBound: 0
; FloatMode: 240
; IeeeMode: 1
; LDSByteSize: 0 bytes/workgroup (compile time only)
; SGPRBlocks: 0
; VGPRBlocks: 2
; NumSGPRsForWavesPerEU: 52
; NumVGPRsForWavesPerEU: 37
; NamedBarCnt: 0
; Occupancy: 16
; WaveLimiterHint : 0
; COMPUTE_PGM_RSRC2:SCRATCH_EN: 0
; COMPUTE_PGM_RSRC2:USER_SGPR: 2
; COMPUTE_PGM_RSRC2:TRAP_HANDLER: 0
; COMPUTE_PGM_RSRC2:TGID_X_EN: 1
; COMPUTE_PGM_RSRC2:TGID_Y_EN: 0
; COMPUTE_PGM_RSRC2:TGID_Z_EN: 0
; COMPUTE_PGM_RSRC2:TIDIG_COMP_CNT: 0
	.text
	.p2alignl 7, 3214868480
	.fill 96, 4, 3214868480
	.section	.AMDGPU.gpr_maximums,"",@progbits
	.set amdgpu.max_num_vgpr, 0
	.set amdgpu.max_num_agpr, 0
	.set amdgpu.max_num_sgpr, 0
	.text
	.type	__hip_cuid_a30de10935917aca,@object ; @__hip_cuid_a30de10935917aca
	.section	.bss,"aw",@nobits
	.globl	__hip_cuid_a30de10935917aca
__hip_cuid_a30de10935917aca:
	.byte	0                               ; 0x0
	.size	__hip_cuid_a30de10935917aca, 1

	.ident	"AMD clang version 22.0.0git (https://github.com/RadeonOpenCompute/llvm-project roc-7.2.4 26084 f58b06dce1f9c15707c5f808fd002e18c2accf7e)"
	.section	".note.GNU-stack","",@progbits
	.addrsig
	.addrsig_sym __hip_cuid_a30de10935917aca
	.amdgpu_metadata
---
amdhsa.kernels:
  - .args:
      - .offset:         0
        .size:           4
        .value_kind:     by_value
      - .offset:         4
        .size:           4
        .value_kind:     by_value
      - .offset:         8
        .size:           4
        .value_kind:     by_value
      - .actual_access:  read_only
        .address_space:  global
        .offset:         16
        .size:           8
        .value_kind:     global_buffer
      - .actual_access:  write_only
        .address_space:  global
        .offset:         24
        .size:           8
        .value_kind:     global_buffer
      - .actual_access:  write_only
        .address_space:  global
        .offset:         32
        .size:           8
        .value_kind:     global_buffer
      - .offset:         40
        .size:           4
        .value_kind:     hidden_block_count_x
      - .offset:         44
        .size:           4
        .value_kind:     hidden_block_count_y
      - .offset:         48
        .size:           4
        .value_kind:     hidden_block_count_z
      - .offset:         52
        .size:           2
        .value_kind:     hidden_group_size_x
      - .offset:         54
        .size:           2
        .value_kind:     hidden_group_size_y
      - .offset:         56
        .size:           2
        .value_kind:     hidden_group_size_z
      - .offset:         58
        .size:           2
        .value_kind:     hidden_remainder_x
      - .offset:         60
        .size:           2
        .value_kind:     hidden_remainder_y
      - .offset:         62
        .size:           2
        .value_kind:     hidden_remainder_z
      - .offset:         80
        .size:           8
        .value_kind:     hidden_global_offset_x
      - .offset:         88
        .size:           8
        .value_kind:     hidden_global_offset_y
      - .offset:         96
        .size:           8
        .value_kind:     hidden_global_offset_z
      - .offset:         104
        .size:           2
        .value_kind:     hidden_grid_dims
    .group_segment_fixed_size: 0
    .kernarg_segment_align: 8
    .kernarg_segment_size: 296
    .language:       OpenCL C
    .language_version:
      - 2
      - 0
    .max_flat_workgroup_size: 1024
    .name:           _Z18BP_queens_root_dfsijiPK10queen_rootPyS2_
    .private_segment_fixed_size: 0
    .sgpr_count:     52
    .sgpr_spill_count: 0
    .symbol:         _Z18BP_queens_root_dfsijiPK10queen_rootPyS2_.kd
    .uniform_work_group_size: 1
    .uses_dynamic_stack: false
    .vgpr_count:     37
    .vgpr_spill_count: 0
    .wavefront_size: 32
amdhsa.target:   amdgcn-amd-amdhsa--gfx1250
amdhsa.version:
  - 1
  - 2
...

	.end_amdgpu_metadata
